;; amdgpu-corpus repo=ROCm/rocFFT kind=compiled arch=gfx1030 opt=O3
	.text
	.amdgcn_target "amdgcn-amd-amdhsa--gfx1030"
	.amdhsa_code_object_version 6
	.protected	fft_rtc_back_len1760_factors_2_2_2_2_2_11_5_wgs_176_tpt_176_halfLds_sp_op_CI_CI_sbrr_dirReg ; -- Begin function fft_rtc_back_len1760_factors_2_2_2_2_2_11_5_wgs_176_tpt_176_halfLds_sp_op_CI_CI_sbrr_dirReg
	.globl	fft_rtc_back_len1760_factors_2_2_2_2_2_11_5_wgs_176_tpt_176_halfLds_sp_op_CI_CI_sbrr_dirReg
	.p2align	8
	.type	fft_rtc_back_len1760_factors_2_2_2_2_2_11_5_wgs_176_tpt_176_halfLds_sp_op_CI_CI_sbrr_dirReg,@function
fft_rtc_back_len1760_factors_2_2_2_2_2_11_5_wgs_176_tpt_176_halfLds_sp_op_CI_CI_sbrr_dirReg: ; @fft_rtc_back_len1760_factors_2_2_2_2_2_11_5_wgs_176_tpt_176_halfLds_sp_op_CI_CI_sbrr_dirReg
; %bb.0:
	s_clause 0x2
	s_load_dwordx4 s[16:19], s[4:5], 0x18
	s_load_dwordx4 s[12:15], s[4:5], 0x0
	;; [unrolled: 1-line block ×3, first 2 shown]
	v_mul_u32_u24_e32 v1, 0x175, v0
	v_mov_b32_e32 v7, 0
	v_mov_b32_e32 v5, 0
	;; [unrolled: 1-line block ×3, first 2 shown]
	s_waitcnt lgkmcnt(0)
	s_load_dwordx2 s[20:21], s[16:17], 0x0
	s_load_dwordx2 s[2:3], s[18:19], 0x0
	v_cmp_lt_u64_e64 s0, s[14:15], 2
	v_add_nc_u32_sdwa v9, s6, v1 dst_sel:DWORD dst_unused:UNUSED_PAD src0_sel:DWORD src1_sel:WORD_1
	v_mov_b32_e32 v10, v7
	s_and_b32 vcc_lo, exec_lo, s0
	s_cbranch_vccnz .LBB0_8
; %bb.1:
	s_load_dwordx2 s[0:1], s[4:5], 0x10
	v_mov_b32_e32 v5, 0
	v_mov_b32_e32 v6, 0
	s_add_u32 s6, s18, 8
	s_addc_u32 s7, s19, 0
	v_mov_b32_e32 v1, v5
	s_add_u32 s22, s16, 8
	v_mov_b32_e32 v2, v6
	s_addc_u32 s23, s17, 0
	s_mov_b64 s[26:27], 1
	s_waitcnt lgkmcnt(0)
	s_add_u32 s24, s0, 8
	s_addc_u32 s25, s1, 0
.LBB0_2:                                ; =>This Inner Loop Header: Depth=1
	s_load_dwordx2 s[28:29], s[24:25], 0x0
                                        ; implicit-def: $vgpr3_vgpr4
	s_mov_b32 s0, exec_lo
	s_waitcnt lgkmcnt(0)
	v_or_b32_e32 v8, s29, v10
	v_cmpx_ne_u64_e32 0, v[7:8]
	s_xor_b32 s1, exec_lo, s0
	s_cbranch_execz .LBB0_4
; %bb.3:                                ;   in Loop: Header=BB0_2 Depth=1
	v_cvt_f32_u32_e32 v3, s28
	v_cvt_f32_u32_e32 v4, s29
	s_sub_u32 s0, 0, s28
	s_subb_u32 s30, 0, s29
	v_fmac_f32_e32 v3, 0x4f800000, v4
	v_rcp_f32_e32 v3, v3
	v_mul_f32_e32 v3, 0x5f7ffffc, v3
	v_mul_f32_e32 v4, 0x2f800000, v3
	v_trunc_f32_e32 v4, v4
	v_fmac_f32_e32 v3, 0xcf800000, v4
	v_cvt_u32_f32_e32 v4, v4
	v_cvt_u32_f32_e32 v3, v3
	v_mul_lo_u32 v8, s0, v4
	v_mul_hi_u32 v11, s0, v3
	v_mul_lo_u32 v12, s30, v3
	v_add_nc_u32_e32 v8, v11, v8
	v_mul_lo_u32 v11, s0, v3
	v_add_nc_u32_e32 v8, v8, v12
	v_mul_hi_u32 v12, v3, v11
	v_mul_lo_u32 v13, v3, v8
	v_mul_hi_u32 v14, v3, v8
	v_mul_hi_u32 v15, v4, v11
	v_mul_lo_u32 v11, v4, v11
	v_mul_hi_u32 v16, v4, v8
	v_mul_lo_u32 v8, v4, v8
	v_add_co_u32 v12, vcc_lo, v12, v13
	v_add_co_ci_u32_e32 v13, vcc_lo, 0, v14, vcc_lo
	v_add_co_u32 v11, vcc_lo, v12, v11
	v_add_co_ci_u32_e32 v11, vcc_lo, v13, v15, vcc_lo
	v_add_co_ci_u32_e32 v12, vcc_lo, 0, v16, vcc_lo
	v_add_co_u32 v8, vcc_lo, v11, v8
	v_add_co_ci_u32_e32 v11, vcc_lo, 0, v12, vcc_lo
	v_add_co_u32 v3, vcc_lo, v3, v8
	v_add_co_ci_u32_e32 v4, vcc_lo, v4, v11, vcc_lo
	v_mul_hi_u32 v8, s0, v3
	v_mul_lo_u32 v12, s30, v3
	v_mul_lo_u32 v11, s0, v4
	v_add_nc_u32_e32 v8, v8, v11
	v_mul_lo_u32 v11, s0, v3
	v_add_nc_u32_e32 v8, v8, v12
	v_mul_hi_u32 v12, v3, v11
	v_mul_lo_u32 v13, v3, v8
	v_mul_hi_u32 v14, v3, v8
	v_mul_hi_u32 v15, v4, v11
	v_mul_lo_u32 v11, v4, v11
	v_mul_hi_u32 v16, v4, v8
	v_mul_lo_u32 v8, v4, v8
	v_add_co_u32 v12, vcc_lo, v12, v13
	v_add_co_ci_u32_e32 v13, vcc_lo, 0, v14, vcc_lo
	v_add_co_u32 v11, vcc_lo, v12, v11
	v_add_co_ci_u32_e32 v11, vcc_lo, v13, v15, vcc_lo
	v_add_co_ci_u32_e32 v12, vcc_lo, 0, v16, vcc_lo
	v_add_co_u32 v8, vcc_lo, v11, v8
	v_add_co_ci_u32_e32 v11, vcc_lo, 0, v12, vcc_lo
	v_add_co_u32 v8, vcc_lo, v3, v8
	v_add_co_ci_u32_e32 v13, vcc_lo, v4, v11, vcc_lo
	v_mul_hi_u32 v15, v9, v8
	v_mad_u64_u32 v[11:12], null, v10, v8, 0
	v_mad_u64_u32 v[3:4], null, v9, v13, 0
	v_mad_u64_u32 v[13:14], null, v10, v13, 0
	v_add_co_u32 v3, vcc_lo, v15, v3
	v_add_co_ci_u32_e32 v4, vcc_lo, 0, v4, vcc_lo
	v_add_co_u32 v3, vcc_lo, v3, v11
	v_add_co_ci_u32_e32 v3, vcc_lo, v4, v12, vcc_lo
	v_add_co_ci_u32_e32 v4, vcc_lo, 0, v14, vcc_lo
	v_add_co_u32 v8, vcc_lo, v3, v13
	v_add_co_ci_u32_e32 v11, vcc_lo, 0, v4, vcc_lo
	v_mul_lo_u32 v12, s29, v8
	v_mad_u64_u32 v[3:4], null, s28, v8, 0
	v_mul_lo_u32 v13, s28, v11
	v_sub_co_u32 v3, vcc_lo, v9, v3
	v_add3_u32 v4, v4, v13, v12
	v_sub_nc_u32_e32 v12, v10, v4
	v_subrev_co_ci_u32_e64 v12, s0, s29, v12, vcc_lo
	v_add_co_u32 v13, s0, v8, 2
	v_add_co_ci_u32_e64 v14, s0, 0, v11, s0
	v_sub_co_u32 v15, s0, v3, s28
	v_sub_co_ci_u32_e32 v4, vcc_lo, v10, v4, vcc_lo
	v_subrev_co_ci_u32_e64 v12, s0, 0, v12, s0
	v_cmp_le_u32_e32 vcc_lo, s28, v15
	v_cmp_eq_u32_e64 s0, s29, v4
	v_cndmask_b32_e64 v15, 0, -1, vcc_lo
	v_cmp_le_u32_e32 vcc_lo, s29, v12
	v_cndmask_b32_e64 v16, 0, -1, vcc_lo
	v_cmp_le_u32_e32 vcc_lo, s28, v3
	;; [unrolled: 2-line block ×3, first 2 shown]
	v_cndmask_b32_e64 v17, 0, -1, vcc_lo
	v_cmp_eq_u32_e32 vcc_lo, s29, v12
	v_cndmask_b32_e64 v3, v17, v3, s0
	v_cndmask_b32_e32 v12, v16, v15, vcc_lo
	v_add_co_u32 v15, vcc_lo, v8, 1
	v_add_co_ci_u32_e32 v16, vcc_lo, 0, v11, vcc_lo
	v_cmp_ne_u32_e32 vcc_lo, 0, v12
	v_cndmask_b32_e32 v4, v16, v14, vcc_lo
	v_cndmask_b32_e32 v12, v15, v13, vcc_lo
	v_cmp_ne_u32_e32 vcc_lo, 0, v3
	v_cndmask_b32_e32 v4, v11, v4, vcc_lo
	v_cndmask_b32_e32 v3, v8, v12, vcc_lo
.LBB0_4:                                ;   in Loop: Header=BB0_2 Depth=1
	s_andn2_saveexec_b32 s0, s1
	s_cbranch_execz .LBB0_6
; %bb.5:                                ;   in Loop: Header=BB0_2 Depth=1
	v_cvt_f32_u32_e32 v3, s28
	s_sub_i32 s1, 0, s28
	v_rcp_iflag_f32_e32 v3, v3
	v_mul_f32_e32 v3, 0x4f7ffffe, v3
	v_cvt_u32_f32_e32 v3, v3
	v_mul_lo_u32 v4, s1, v3
	v_mul_hi_u32 v4, v3, v4
	v_add_nc_u32_e32 v3, v3, v4
	v_mul_hi_u32 v3, v9, v3
	v_mul_lo_u32 v4, v3, s28
	v_add_nc_u32_e32 v8, 1, v3
	v_sub_nc_u32_e32 v4, v9, v4
	v_subrev_nc_u32_e32 v11, s28, v4
	v_cmp_le_u32_e32 vcc_lo, s28, v4
	v_cndmask_b32_e32 v4, v4, v11, vcc_lo
	v_cndmask_b32_e32 v3, v3, v8, vcc_lo
	v_cmp_le_u32_e32 vcc_lo, s28, v4
	v_add_nc_u32_e32 v8, 1, v3
	v_mov_b32_e32 v4, v7
	v_cndmask_b32_e32 v3, v3, v8, vcc_lo
.LBB0_6:                                ;   in Loop: Header=BB0_2 Depth=1
	s_or_b32 exec_lo, exec_lo, s0
	v_mul_lo_u32 v8, v4, s28
	v_mul_lo_u32 v13, v3, s29
	s_load_dwordx2 s[0:1], s[22:23], 0x0
	v_mad_u64_u32 v[11:12], null, v3, s28, 0
	s_load_dwordx2 s[28:29], s[6:7], 0x0
	s_add_u32 s26, s26, 1
	s_addc_u32 s27, s27, 0
	s_add_u32 s6, s6, 8
	s_addc_u32 s7, s7, 0
	s_add_u32 s22, s22, 8
	v_add3_u32 v8, v12, v13, v8
	v_sub_co_u32 v9, vcc_lo, v9, v11
	s_addc_u32 s23, s23, 0
	s_add_u32 s24, s24, 8
	v_sub_co_ci_u32_e32 v8, vcc_lo, v10, v8, vcc_lo
	s_addc_u32 s25, s25, 0
	s_waitcnt lgkmcnt(0)
	v_mul_lo_u32 v10, s0, v8
	v_mul_lo_u32 v11, s1, v9
	v_mad_u64_u32 v[5:6], null, s0, v9, v[5:6]
	v_mul_lo_u32 v8, s28, v8
	v_mul_lo_u32 v12, s29, v9
	v_mad_u64_u32 v[1:2], null, s28, v9, v[1:2]
	v_cmp_ge_u64_e64 s0, s[26:27], s[14:15]
	v_add3_u32 v6, v11, v6, v10
	v_add3_u32 v2, v12, v2, v8
	s_and_b32 vcc_lo, exec_lo, s0
	s_cbranch_vccnz .LBB0_9
; %bb.7:                                ;   in Loop: Header=BB0_2 Depth=1
	v_mov_b32_e32 v10, v4
	v_mov_b32_e32 v9, v3
	s_branch .LBB0_2
.LBB0_8:
	v_mov_b32_e32 v1, v5
	v_mov_b32_e32 v3, v9
	;; [unrolled: 1-line block ×4, first 2 shown]
.LBB0_9:
	s_load_dwordx2 s[0:1], s[4:5], 0x28
	v_mul_hi_u32 v11, 0x1745d18, v0
	s_lshl_b64 s[6:7], s[14:15], 3
                                        ; implicit-def: $sgpr14_sgpr15
                                        ; implicit-def: $vgpr27
                                        ; implicit-def: $vgpr33
                                        ; implicit-def: $vgpr34
                                        ; implicit-def: $vgpr35
                                        ; implicit-def: $vgpr36
	s_add_u32 s4, s18, s6
	s_addc_u32 s5, s19, s7
	s_waitcnt lgkmcnt(0)
	v_cmp_gt_u64_e32 vcc_lo, s[0:1], v[3:4]
	v_cmp_le_u64_e64 s0, s[0:1], v[3:4]
	s_and_saveexec_b32 s1, s0
	s_xor_b32 s0, exec_lo, s1
; %bb.10:
	v_mul_u32_u24_e32 v5, 0xb0, v11
	s_mov_b64 s[14:15], 0
                                        ; implicit-def: $vgpr11
	v_sub_nc_u32_e32 v27, v0, v5
                                        ; implicit-def: $vgpr0
                                        ; implicit-def: $vgpr5_vgpr6
	v_add_nc_u32_e32 v33, 0xb0, v27
	v_add_nc_u32_e32 v34, 0x160, v27
	;; [unrolled: 1-line block ×4, first 2 shown]
; %bb.11:
	s_or_saveexec_b32 s1, s0
	v_mov_b32_e32 v7, s14
	v_mov_b32_e32 v9, s14
	;; [unrolled: 1-line block ×10, first 2 shown]
                                        ; implicit-def: $vgpr14
                                        ; implicit-def: $vgpr12
                                        ; implicit-def: $vgpr26
                                        ; implicit-def: $vgpr22
                                        ; implicit-def: $vgpr24
	s_xor_b32 exec_lo, exec_lo, s1
	s_cbranch_execz .LBB0_13
; %bb.12:
	s_add_u32 s6, s16, s6
	s_addc_u32 s7, s17, s7
	v_mul_u32_u24_e32 v7, 0xb0, v11
	s_load_dwordx2 s[6:7], s[6:7], 0x0
	v_lshlrev_b64 v[5:6], 3, v[5:6]
	v_sub_nc_u32_e32 v27, v0, v7
	v_mad_u64_u32 v[7:8], null, s20, v27, 0
	v_add_nc_u32_e32 v20, 0x370, v27
	v_add_nc_u32_e32 v33, 0xb0, v27
	;; [unrolled: 1-line block ×5, first 2 shown]
	v_mad_u64_u32 v[9:10], null, s20, v20, 0
	v_mov_b32_e32 v0, v8
	v_mad_u64_u32 v[11:12], null, s20, v33, 0
	s_waitcnt lgkmcnt(0)
	v_mul_lo_u32 v8, s7, v3
	v_mul_lo_u32 v21, s6, v4
	v_mad_u64_u32 v[13:14], null, s6, v3, 0
	v_mad_u64_u32 v[15:16], null, s20, v22, 0
	;; [unrolled: 1-line block ×3, first 2 shown]
	v_mov_b32_e32 v0, v10
	v_mov_b32_e32 v10, v12
	v_add3_u32 v14, v14, v21, v8
	v_mad_u64_u32 v[18:19], null, s20, v34, 0
	v_mov_b32_e32 v12, v16
	v_mad_u64_u32 v[20:21], null, s21, v20, v[0:1]
	v_lshlrev_b64 v[13:14], 3, v[13:14]
	v_mov_b32_e32 v8, v17
	v_mad_u64_u32 v[16:17], null, s21, v33, v[10:11]
	v_add_nc_u32_e32 v17, 0x4d0, v27
	v_add_nc_u32_e32 v24, 0x580, v27
	v_mad_u64_u32 v[21:22], null, s21, v22, v[12:13]
	v_add_co_u32 v0, s0, s8, v13
	v_add_co_ci_u32_e64 v12, s0, s9, v14, s0
	v_mov_b32_e32 v10, v20
	v_add_co_u32 v30, s0, v0, v5
	v_add_co_ci_u32_e64 v31, s0, v12, v6, s0
	v_mov_b32_e32 v12, v16
	v_mov_b32_e32 v16, v21
	v_lshlrev_b64 v[7:8], 3, v[7:8]
	v_lshlrev_b64 v[5:6], 3, v[9:10]
	v_mov_b32_e32 v0, v19
	v_lshlrev_b64 v[9:10], 3, v[11:12]
	v_lshlrev_b64 v[11:12], 3, v[15:16]
	v_mad_u64_u32 v[15:16], null, s20, v17, 0
	v_add_co_u32 v7, s0, v30, v7
	v_mad_u64_u32 v[13:14], null, s21, v34, v[0:1]
	v_mad_u64_u32 v[20:21], null, s20, v35, 0
	v_add_co_ci_u32_e64 v8, s0, v31, v8, s0
	v_add_co_u32 v5, s0, v30, v5
	v_mov_b32_e32 v0, v16
	v_add_co_ci_u32_e64 v6, s0, v31, v6, s0
	v_add_co_u32 v9, s0, v30, v9
	v_add_co_ci_u32_e64 v10, s0, v31, v10, s0
	v_mov_b32_e32 v19, v13
	v_mad_u64_u32 v[16:17], null, s21, v17, v[0:1]
	v_mad_u64_u32 v[22:23], null, s20, v24, 0
	v_mov_b32_e32 v0, v21
	v_add_co_u32 v11, s0, v30, v11
	v_add_nc_u32_e32 v36, 0x2c0, v27
	v_add_co_ci_u32_e64 v12, s0, v31, v12, s0
	s_clause 0x3
	global_load_dwordx2 v[7:8], v[7:8], off
	global_load_dwordx2 v[13:14], v[5:6], off
	;; [unrolled: 1-line block ×4, first 2 shown]
	v_lshlrev_b64 v[5:6], 3, v[18:19]
	v_mad_u64_u32 v[17:18], null, s21, v35, v[0:1]
	v_mad_u64_u32 v[18:19], null, s20, v36, 0
	v_mov_b32_e32 v0, v23
	v_add_nc_u32_e32 v26, 0x630, v27
	v_lshlrev_b64 v[15:16], 3, v[15:16]
	v_add_co_u32 v5, s0, v30, v5
	v_mad_u64_u32 v[23:24], null, s21, v24, v[0:1]
	v_mad_u64_u32 v[24:25], null, s20, v26, 0
	v_mov_b32_e32 v0, v19
	v_mov_b32_e32 v21, v17
	v_add_co_ci_u32_e64 v6, s0, v31, v6, s0
	v_add_co_u32 v15, s0, v30, v15
	v_mad_u64_u32 v[28:29], null, s21, v36, v[0:1]
	v_mov_b32_e32 v0, v25
	v_lshlrev_b64 v[20:21], 3, v[20:21]
	v_lshlrev_b64 v[22:23], 3, v[22:23]
	v_add_co_ci_u32_e64 v16, s0, v31, v16, s0
	v_mad_u64_u32 v[25:26], null, s21, v26, v[0:1]
	v_mov_b32_e32 v19, v28
	v_add_co_u32 v28, s0, v30, v20
	v_add_co_ci_u32_e64 v29, s0, v31, v21, s0
	v_lshlrev_b64 v[17:18], 3, v[18:19]
	v_add_co_u32 v21, s0, v30, v22
	v_lshlrev_b64 v[19:20], 3, v[24:25]
	v_add_co_ci_u32_e64 v22, s0, v31, v23, s0
	v_add_co_u32 v17, s0, v30, v17
	v_add_co_ci_u32_e64 v18, s0, v31, v18, s0
	v_add_co_u32 v30, s0, v30, v19
	v_add_co_ci_u32_e64 v31, s0, v31, v20, s0
	s_clause 0x5
	global_load_dwordx2 v[19:20], v[5:6], off
	global_load_dwordx2 v[25:26], v[15:16], off
	;; [unrolled: 1-line block ×6, first 2 shown]
.LBB0_13:
	s_or_b32 exec_lo, exec_lo, s1
	s_waitcnt vmcnt(8)
	v_sub_f32_e32 v6, v7, v13
	v_sub_f32_e32 v13, v8, v14
	v_lshl_add_u32 v14, v27, 3, 0
	s_waitcnt vmcnt(6)
	v_sub_f32_e32 v32, v9, v11
	s_waitcnt vmcnt(4)
	v_sub_f32_e32 v38, v19, v25
	v_fma_f32 v5, v7, 2.0, -v6
	v_sub_f32_e32 v11, v10, v12
	v_sub_f32_e32 v26, v20, v26
	v_fma_f32 v12, v8, 2.0, -v13
	s_waitcnt vmcnt(2)
	v_sub_f32_e32 v8, v15, v23
	s_waitcnt vmcnt(0)
	v_sub_f32_e32 v23, v17, v21
	ds_write_b64 v14, v[5:6]
	v_lshlrev_b32_e32 v5, 2, v27
	v_fma_f32 v31, v9, 2.0, -v32
	v_lshl_add_u32 v28, v33, 3, 0
	v_fma_f32 v37, v19, 2.0, -v38
	v_lshl_add_u32 v29, v34, 3, 0
	v_fma_f32 v25, v20, 2.0, -v26
	v_sub_f32_e32 v20, v16, v24
	v_fma_f32 v7, v15, 2.0, -v8
	v_lshl_add_u32 v24, v35, 3, 0
	v_sub_f32_e32 v40, v18, v22
	v_fma_f32 v22, v17, 2.0, -v23
	v_lshl_add_u32 v30, v36, 3, 0
	v_sub_nc_u32_e32 v0, v14, v5
	s_load_dwordx2 s[4:5], s[4:5], 0x0
	ds_write_b64 v28, v[31:32]
	ds_write_b64 v29, v[37:38]
	;; [unrolled: 1-line block ×4, first 2 shown]
	v_lshlrev_b32_e32 v31, 2, v34
	v_lshlrev_b32_e32 v15, 2, v35
	;; [unrolled: 1-line block ×4, first 2 shown]
	v_add_nc_u32_e32 v23, 0x1300, v0
	v_and_b32_e32 v45, 1, v27
	v_fma_f32 v10, v10, 2.0, -v11
	v_fma_f32 v19, v16, 2.0, -v20
	v_add_nc_u32_e32 v9, 0xd00, v0
	v_sub_nc_u32_e32 v16, v29, v31
	v_sub_nc_u32_e32 v17, v24, v15
	v_fma_f32 v39, v18, 2.0, -v40
	v_sub_nc_u32_e32 v18, v30, v32
	v_sub_nc_u32_e32 v15, v28, v6
	s_waitcnt lgkmcnt(0)
	s_barrier
	buffer_gl0_inv
	ds_read_b32 v37, v0
	ds_read2_b32 v[7:8], v9 offset0:48 offset1:224
	ds_read2_b32 v[21:22], v23 offset0:16 offset1:192
	ds_read_b32 v38, v16
	ds_read_b32 v41, v17
	;; [unrolled: 1-line block ×4, first 2 shown]
	ds_read_b32 v44, v0 offset:6336
	s_waitcnt lgkmcnt(0)
	s_barrier
	buffer_gl0_inv
	ds_write_b64 v14, v[12:13]
	ds_write_b64 v28, v[10:11]
	;; [unrolled: 1-line block ×4, first 2 shown]
	v_lshlrev_b32_e32 v10, 3, v45
	ds_write_b64 v30, v[39:40]
	s_waitcnt lgkmcnt(0)
	s_barrier
	buffer_gl0_inv
	global_load_dwordx2 v[19:20], v10, s[12:13]
	ds_read2_b32 v[24:25], v9 offset0:48 offset1:224
	v_lshlrev_b32_e32 v11, 1, v33
	v_lshlrev_b32_e32 v12, 1, v34
	ds_read_b32 v40, v0
	ds_read2_b32 v[33:34], v23 offset0:16 offset1:192
	ds_read_b32 v46, v16
	ds_read_b32 v47, v17
	;; [unrolled: 1-line block ×4, first 2 shown]
	ds_read_b32 v50, v0 offset:6336
	v_lshlrev_b32_e32 v10, 1, v27
	v_lshlrev_b32_e32 v13, 1, v35
	;; [unrolled: 1-line block ×3, first 2 shown]
	v_and_b32_e32 v26, 3, v27
	v_and_or_b32 v36, 0x3fc, v11, v45
	v_and_or_b32 v35, 0x1fc, v10, v45
	;; [unrolled: 1-line block ×5, first 2 shown]
	v_lshlrev_b32_e32 v52, 3, v26
	v_lshl_add_u32 v35, v35, 2, 0
	v_lshl_add_u32 v36, v36, 2, 0
	;; [unrolled: 1-line block ×5, first 2 shown]
	s_waitcnt vmcnt(0) lgkmcnt(0)
	s_barrier
	buffer_gl0_inv
	v_cmp_gt_u32_e64 s0, 0xa0, v27
	v_mul_f32_e32 v53, v24, v20
	v_mul_f32_e32 v54, v7, v20
	;; [unrolled: 1-line block ×9, first 2 shown]
	v_fmac_f32_e32 v53, v7, v19
	v_mul_f32_e32 v7, v44, v20
	v_fmac_f32_e32 v55, v8, v19
	v_fma_f32 v8, v24, v19, -v54
	v_fma_f32 v20, v25, v19, -v56
	v_fmac_f32_e32 v57, v21, v19
	v_fma_f32 v21, v33, v19, -v58
	v_fmac_f32_e32 v59, v22, v19
	v_fma_f32 v22, v34, v19, -v60
	v_fmac_f32_e32 v61, v44, v19
	v_fma_f32 v7, v50, v19, -v7
	v_sub_f32_e32 v19, v37, v53
	v_sub_f32_e32 v24, v40, v8
	;; [unrolled: 1-line block ×10, first 2 shown]
	v_fma_f32 v7, v37, 2.0, -v19
	v_fma_f32 v37, v40, 2.0, -v24
	;; [unrolled: 1-line block ×10, first 2 shown]
	ds_write2_b32 v35, v7, v19 offset1:2
	ds_write2_b32 v36, v40, v8 offset1:2
	;; [unrolled: 1-line block ×5, first 2 shown]
	s_waitcnt lgkmcnt(0)
	s_barrier
	buffer_gl0_inv
	ds_read_b32 v38, v0
	ds_read2_b32 v[7:8], v9 offset0:48 offset1:224
	ds_read2_b32 v[19:20], v23 offset0:16 offset1:192
	ds_read_b32 v40, v16
	ds_read_b32 v41, v17
	;; [unrolled: 1-line block ×4, first 2 shown]
	ds_read_b32 v50, v0 offset:6336
	s_waitcnt lgkmcnt(0)
	s_barrier
	buffer_gl0_inv
	ds_write2_b32 v35, v37, v24 offset1:2
	ds_write2_b32 v36, v43, v25 offset1:2
	;; [unrolled: 1-line block ×5, first 2 shown]
	s_waitcnt lgkmcnt(0)
	s_barrier
	buffer_gl0_inv
	global_load_dwordx2 v[21:22], v52, s[12:13] offset:16
	ds_read2_b32 v[24:25], v9 offset0:48 offset1:224
	ds_read_b32 v43, v0
	ds_read2_b32 v[33:34], v23 offset0:16 offset1:192
	ds_read_b32 v44, v16
	ds_read_b32 v45, v17
	ds_read_b32 v46, v18
	ds_read_b32 v47, v15
	ds_read_b32 v48, v0 offset:6336
	v_and_b32_e32 v35, 7, v27
	v_and_or_b32 v36, 0x1f8, v10, v26
	v_and_or_b32 v37, 0x3f8, v11, v26
	;; [unrolled: 1-line block ×5, first 2 shown]
	v_lshlrev_b32_e32 v52, 3, v35
	v_lshl_add_u32 v36, v36, 2, 0
	v_lshl_add_u32 v37, v37, 2, 0
	;; [unrolled: 1-line block ×5, first 2 shown]
	s_waitcnt vmcnt(0) lgkmcnt(0)
	s_barrier
	buffer_gl0_inv
	v_mul_f32_e32 v53, v24, v22
	v_mul_f32_e32 v54, v7, v22
	;; [unrolled: 1-line block ×9, first 2 shown]
	v_fmac_f32_e32 v53, v7, v21
	v_mul_f32_e32 v7, v50, v22
	v_fmac_f32_e32 v55, v8, v21
	v_fma_f32 v8, v24, v21, -v54
	v_fma_f32 v22, v25, v21, -v56
	v_fmac_f32_e32 v57, v19, v21
	v_fma_f32 v19, v33, v21, -v58
	v_fmac_f32_e32 v59, v20, v21
	;; [unrolled: 2-line block ×3, first 2 shown]
	v_fma_f32 v7, v48, v21, -v7
	v_sub_f32_e32 v21, v38, v53
	v_sub_f32_e32 v24, v43, v8
	;; [unrolled: 1-line block ×10, first 2 shown]
	v_fma_f32 v7, v38, 2.0, -v21
	v_fma_f32 v38, v43, 2.0, -v24
	;; [unrolled: 1-line block ×10, first 2 shown]
	ds_write2_b32 v36, v7, v21 offset1:4
	ds_write2_b32 v37, v43, v8 offset1:4
	;; [unrolled: 1-line block ×5, first 2 shown]
	s_waitcnt lgkmcnt(0)
	s_barrier
	buffer_gl0_inv
	ds_read_b32 v40, v0
	ds_read2_b32 v[7:8], v9 offset0:48 offset1:224
	ds_read2_b32 v[19:20], v23 offset0:16 offset1:192
	ds_read_b32 v41, v16
	ds_read_b32 v42, v17
	;; [unrolled: 1-line block ×4, first 2 shown]
	ds_read_b32 v50, v0 offset:6336
	s_waitcnt lgkmcnt(0)
	s_barrier
	buffer_gl0_inv
	ds_write2_b32 v36, v38, v24 offset1:4
	ds_write2_b32 v37, v47, v22 offset1:4
	;; [unrolled: 1-line block ×5, first 2 shown]
	s_waitcnt lgkmcnt(0)
	s_barrier
	buffer_gl0_inv
	global_load_dwordx2 v[21:22], v52, s[12:13] offset:48
	ds_read2_b32 v[24:25], v9 offset0:48 offset1:224
	ds_read_b32 v39, v0
	ds_read2_b32 v[33:34], v23 offset0:16 offset1:192
	ds_read_b32 v44, v16
	ds_read_b32 v45, v17
	;; [unrolled: 1-line block ×4, first 2 shown]
	ds_read_b32 v48, v0 offset:6336
	v_and_b32_e32 v38, 15, v27
	v_and_or_b32 v26, 0x1f0, v10, v35
	v_and_or_b32 v36, 0x3f0, v11, v35
	;; [unrolled: 1-line block ×5, first 2 shown]
	v_lshlrev_b32_e32 v52, 3, v38
	v_lshl_add_u32 v26, v26, 2, 0
	v_lshl_add_u32 v36, v36, 2, 0
	v_lshl_add_u32 v37, v37, 2, 0
	v_lshl_add_u32 v51, v51, 2, 0
	v_lshl_add_u32 v35, v35, 2, 0
	s_waitcnt vmcnt(0) lgkmcnt(0)
	s_barrier
	buffer_gl0_inv
	v_mul_f32_e32 v53, v24, v22
	v_mul_f32_e32 v54, v7, v22
	;; [unrolled: 1-line block ×9, first 2 shown]
	v_fmac_f32_e32 v53, v7, v21
	v_mul_f32_e32 v7, v50, v22
	v_fmac_f32_e32 v55, v8, v21
	v_fma_f32 v8, v24, v21, -v54
	v_fma_f32 v22, v25, v21, -v56
	v_fmac_f32_e32 v57, v19, v21
	v_fma_f32 v19, v33, v21, -v58
	v_fmac_f32_e32 v59, v20, v21
	;; [unrolled: 2-line block ×3, first 2 shown]
	v_fma_f32 v7, v48, v21, -v7
	v_sub_f32_e32 v21, v40, v53
	v_sub_f32_e32 v24, v39, v8
	;; [unrolled: 1-line block ×10, first 2 shown]
	v_fma_f32 v7, v40, 2.0, -v21
	v_fma_f32 v40, v39, 2.0, -v24
	;; [unrolled: 1-line block ×10, first 2 shown]
	ds_write2_b32 v26, v7, v21 offset1:8
	ds_write2_b32 v36, v39, v8 offset1:8
	;; [unrolled: 1-line block ×5, first 2 shown]
	s_waitcnt lgkmcnt(0)
	s_barrier
	buffer_gl0_inv
	ds_read_b32 v49, v0
	ds_read2_b32 v[19:20], v9 offset0:48 offset1:224
	ds_read2_b32 v[7:8], v23 offset0:16 offset1:192
	ds_read_b32 v50, v16
	ds_read_b32 v53, v17
	;; [unrolled: 1-line block ×4, first 2 shown]
	ds_read_b32 v39, v0 offset:6336
	s_waitcnt lgkmcnt(0)
	s_barrier
	buffer_gl0_inv
	ds_write2_b32 v26, v40, v24 offset1:8
	ds_write2_b32 v36, v47, v22 offset1:8
	;; [unrolled: 1-line block ×5, first 2 shown]
	s_waitcnt lgkmcnt(0)
	s_barrier
	buffer_gl0_inv
	global_load_dwordx2 v[21:22], v52, s[12:13] offset:112
	ds_read_b32 v33, v0
	ds_read2_b32 v[25:26], v9 offset0:48 offset1:224
	ds_read2_b32 v[23:24], v23 offset0:16 offset1:192
	ds_read_b32 v34, v16
	ds_read_b32 v35, v17
	;; [unrolled: 1-line block ×4, first 2 shown]
	ds_read_b32 v41, v0 offset:6336
	v_and_or_b32 v9, 0x1e0, v10, v38
	v_and_or_b32 v10, 0x3e0, v11, v38
	;; [unrolled: 1-line block ×5, first 2 shown]
	v_lshl_add_u32 v42, v9, 2, 0
	v_lshl_add_u32 v43, v10, 2, 0
	;; [unrolled: 1-line block ×6, first 2 shown]
	s_waitcnt vmcnt(0) lgkmcnt(0)
	s_barrier
	buffer_gl0_inv
	v_mul_f32_e32 v9, v25, v22
	v_mul_f32_e32 v11, v26, v22
	;; [unrolled: 1-line block ×5, first 2 shown]
	v_fmac_f32_e32 v9, v19, v21
	v_fmac_f32_e32 v11, v20, v21
	;; [unrolled: 1-line block ×5, first 2 shown]
	v_sub_f32_e32 v10, v49, v9
	v_sub_f32_e32 v18, v55, v11
	;; [unrolled: 1-line block ×5, first 2 shown]
	v_fma_f32 v9, v49, 2.0, -v10
	v_fma_f32 v17, v55, 2.0, -v18
	;; [unrolled: 1-line block ×5, first 2 shown]
	ds_write2_b32 v42, v9, v10 offset1:16
	ds_write2_b32 v43, v17, v18 offset1:16
	;; [unrolled: 1-line block ×5, first 2 shown]
	s_waitcnt lgkmcnt(0)
	s_barrier
	buffer_gl0_inv
	s_and_saveexec_b32 s1, s0
	s_cbranch_execz .LBB0_15
; %bb.14:
	v_add_nc_u32_e32 v11, 0x400, v0
	v_add_nc_u32_e32 v12, 0xa00, v0
	;; [unrolled: 1-line block ×4, first 2 shown]
	ds_read2_b32 v[9:10], v0 offset1:160
	ds_read2_b32 v[17:18], v11 offset0:64 offset1:224
	ds_read2_b32 v[15:16], v12 offset1:160
	ds_read2_b32 v[13:14], v13 offset0:64 offset1:224
	ds_read_b32 v38, v37 offset:5120
	ds_read2_b32 v[11:12], v47 offset0:32 offset1:192
.LBB0_15:
	s_or_b32 exec_lo, exec_lo, s1
	v_mul_f32_e32 v19, v19, v22
	v_mul_f32_e32 v20, v20, v22
	;; [unrolled: 1-line block ×5, first 2 shown]
	v_fma_f32 v19, v25, v21, -v19
	v_fma_f32 v20, v26, v21, -v20
	;; [unrolled: 1-line block ×5, first 2 shown]
	v_sub_f32_e32 v8, v33, v19
	v_sub_f32_e32 v26, v40, v20
	;; [unrolled: 1-line block ×5, first 2 shown]
	v_fma_f32 v7, v33, 2.0, -v8
	v_fma_f32 v25, v40, 2.0, -v26
	;; [unrolled: 1-line block ×5, first 2 shown]
	s_waitcnt lgkmcnt(0)
	s_barrier
	buffer_gl0_inv
	ds_write2_b32 v42, v7, v8 offset1:16
	ds_write2_b32 v43, v25, v26 offset1:16
	;; [unrolled: 1-line block ×5, first 2 shown]
	s_waitcnt lgkmcnt(0)
	s_barrier
	buffer_gl0_inv
	s_and_saveexec_b32 s1, s0
	s_cbranch_execz .LBB0_17
; %bb.16:
	v_add_nc_u32_e32 v19, 0x400, v0
	v_add_nc_u32_e32 v20, 0xa00, v0
	v_add_nc_u32_e32 v21, 0xe00, v0
	v_add_nc_u32_e32 v33, 0x1600, v0
	ds_read2_b32 v[7:8], v0 offset1:160
	ds_read2_b32 v[25:26], v19 offset0:64 offset1:224
	ds_read2_b32 v[23:24], v20 offset1:160
	ds_read2_b32 v[21:22], v21 offset0:64 offset1:224
	ds_read_b32 v39, v37 offset:5120
	ds_read2_b32 v[19:20], v33 offset0:32 offset1:192
.LBB0_17:
	s_or_b32 exec_lo, exec_lo, s1
	v_and_b32_e32 v33, 31, v27
	v_sub_nc_u32_e32 v47, 0, v31
	v_sub_nc_u32_e32 v49, 0, v32
	;; [unrolled: 1-line block ×3, first 2 shown]
	v_mul_u32_u24_e32 v34, 10, v33
	v_lshlrev_b32_e32 v34, 3, v34
	s_clause 0x4
	global_load_dwordx4 v[40:43], v34, s[12:13] offset:240
	global_load_dwordx4 v[50:53], v34, s[12:13] offset:256
	global_load_dwordx4 v[54:57], v34, s[12:13] offset:272
	global_load_dwordx4 v[58:61], v34, s[12:13] offset:288
	global_load_dwordx4 v[62:65], v34, s[12:13] offset:304
	s_waitcnt vmcnt(0) lgkmcnt(0)
	s_barrier
	buffer_gl0_inv
	v_mul_f32_e32 v44, v8, v41
	v_mul_f32_e32 v36, v10, v41
	;; [unrolled: 1-line block ×11, first 2 shown]
	v_fmac_f32_e32 v44, v10, v40
	v_fma_f32 v45, v8, v40, -v36
	v_fmac_f32_e32 v41, v17, v42
	v_fma_f32 v42, v25, v42, -v37
	v_mul_f32_e32 v8, v13, v57
	v_mul_f32_e32 v25, v22, v59
	;; [unrolled: 1-line block ×4, first 2 shown]
	v_fmac_f32_e32 v35, v18, v50
	v_mul_f32_e32 v17, v38, v61
	v_mul_f32_e32 v43, v19, v63
	v_fma_f32 v37, v26, v50, -v48
	v_mul_f32_e32 v18, v11, v63
	v_mul_f32_e32 v48, v20, v65
	v_fmac_f32_e32 v34, v15, v52
	v_mul_f32_e32 v15, v12, v65
	v_fma_f32 v26, v23, v52, -v51
	v_fmac_f32_e32 v31, v16, v54
	v_fma_f32 v23, v24, v54, -v53
	v_fmac_f32_e32 v32, v13, v56
	;; [unrolled: 2-line block ×6, first 2 shown]
	v_fma_f32 v39, v20, v64, -v15
	v_lshrrev_b32_e32 v21, 5, v27
	s_and_saveexec_b32 s1, s0
	s_cbranch_execz .LBB0_19
; %bb.18:
	v_sub_f32_e32 v8, v45, v39
	v_add_f32_e32 v10, v44, v48
	v_sub_f32_e32 v12, v42, v40
	v_add_f32_e32 v11, v41, v43
	v_sub_f32_e32 v15, v37, v38
	v_mul_f32_e32 v14, 0xbe903f40, v8
	v_add_f32_e32 v13, v35, v36
	v_mul_f32_e32 v18, 0x3f0a6770, v12
	v_sub_f32_e32 v17, v26, v22
	v_mul_f32_e32 v51, 0xbf4178ce, v15
	v_fma_f32 v19, 0xbf75a155, v10, -v14
	v_add_f32_e32 v16, v34, v25
	v_fma_f32 v52, 0x3f575c64, v11, -v18
	v_sub_f32_e32 v50, v23, v24
	v_mul_f32_e32 v53, 0x3f68dda4, v17
	v_add_f32_e32 v19, v9, v19
	v_fmac_f32_e32 v14, 0xbf75a155, v10
	v_fma_f32 v55, 0xbf27a4f4, v13, -v51
	v_add_f32_e32 v20, v31, v32
	v_mul_f32_e32 v54, 0xbf7d64f0, v50
	v_add_f32_e32 v19, v52, v19
	v_mul_f32_e32 v52, 0xbf4178ce, v8
	v_fmac_f32_e32 v18, 0x3f575c64, v11
	v_add_f32_e32 v14, v9, v14
	v_fma_f32 v56, 0x3ed4b147, v16, -v53
	v_add_f32_e32 v19, v55, v19
	v_fma_f32 v55, 0xbe11bafb, v20, -v54
	v_fmac_f32_e32 v51, 0xbf27a4f4, v13
	v_add_f32_e32 v14, v18, v14
	v_fma_f32 v18, 0xbf27a4f4, v10, -v52
	v_add_f32_e32 v19, v56, v19
	v_mul_f32_e32 v56, 0x3f7d64f0, v12
	v_fmac_f32_e32 v53, 0x3ed4b147, v16
	v_add_f32_e32 v14, v51, v14
	v_add_f32_e32 v18, v9, v18
	;; [unrolled: 1-line block ×3, first 2 shown]
	v_fma_f32 v51, 0xbe11bafb, v11, -v56
	v_mul_f32_e32 v55, 0xbf0a6770, v15
	v_add_f32_e32 v14, v53, v14
	v_fmac_f32_e32 v54, 0xbe11bafb, v20
	v_fmac_f32_e32 v52, 0xbf27a4f4, v10
	v_add_f32_e32 v18, v51, v18
	v_fma_f32 v51, 0x3f575c64, v13, -v55
	v_mul_f32_e32 v53, 0xbe903f40, v17
	v_add_f32_e32 v14, v54, v14
	v_add_f32_e32 v52, v9, v52
	v_fmac_f32_e32 v56, 0xbe11bafb, v11
	v_add_f32_e32 v18, v51, v18
	v_fma_f32 v51, 0xbf75a155, v16, -v53
	v_mul_f32_e32 v54, 0x3f68dda4, v50
	v_mul_f32_e32 v57, 0xbf7d64f0, v8
	v_add_f32_e32 v52, v56, v52
	v_fmac_f32_e32 v55, 0x3f575c64, v13
	v_add_f32_e32 v18, v51, v18
	v_fma_f32 v51, 0x3ed4b147, v20, -v54
	v_fma_f32 v56, 0xbe11bafb, v10, -v57
	v_mul_f32_e32 v58, 0x3e903f40, v12
	v_add_f32_e32 v52, v55, v52
	v_fmac_f32_e32 v53, 0xbf75a155, v16
	v_add_f32_e32 v18, v51, v18
	v_add_f32_e32 v51, v9, v56
	v_fma_f32 v55, 0xbf75a155, v11, -v58
	v_mul_f32_e32 v56, 0x3f68dda4, v15
	v_add_f32_e32 v52, v53, v52
	v_fmac_f32_e32 v54, 0x3ed4b147, v20
	v_fmac_f32_e32 v57, 0xbe11bafb, v10
	v_add_f32_e32 v51, v55, v51
	v_fma_f32 v53, 0x3ed4b147, v13, -v56
	v_mul_f32_e32 v55, 0xbf0a6770, v17
	v_add_f32_e32 v52, v54, v52
	v_add_f32_e32 v54, v9, v57
	v_fmac_f32_e32 v58, 0xbf75a155, v11
	v_add_f32_e32 v51, v53, v51
	v_fma_f32 v53, 0x3f575c64, v16, -v55
	v_mul_f32_e32 v57, 0xbf4178ce, v50
	v_mul_f32_e32 v59, 0xbf68dda4, v8
	v_add_f32_e32 v54, v58, v54
	v_fmac_f32_e32 v56, 0x3ed4b147, v13
	v_add_f32_e32 v51, v53, v51
	v_fma_f32 v53, 0xbf27a4f4, v20, -v57
	v_fma_f32 v58, 0x3ed4b147, v10, -v59
	v_mul_f32_e32 v60, 0xbf4178ce, v12
	v_add_f32_e32 v54, v56, v54
	v_fmac_f32_e32 v55, 0x3f575c64, v16
	v_add_f32_e32 v51, v53, v51
	v_add_f32_e32 v53, v9, v58
	v_fma_f32 v56, 0xbf27a4f4, v11, -v60
	v_mul_f32_e32 v58, 0x3e903f40, v15
	v_add_f32_e32 v54, v55, v54
	v_fmac_f32_e32 v57, 0xbf27a4f4, v20
	v_fmac_f32_e32 v59, 0x3ed4b147, v10
	v_add_f32_e32 v53, v56, v53
	v_fma_f32 v55, 0xbf75a155, v13, -v58
	v_mul_f32_e32 v56, 0x3f7d64f0, v17
	v_add_f32_e32 v54, v57, v54
	v_add_f32_e32 v57, v9, v59
	;; [unrolled: 1-line block ×4, first 2 shown]
	v_fma_f32 v55, 0xbe11bafb, v16, -v56
	v_fmac_f32_e32 v60, 0xbf27a4f4, v11
	v_fmac_f32_e32 v58, 0xbf75a155, v13
	v_mul_f32_e32 v8, 0xbf0a6770, v8
	v_fmac_f32_e32 v56, 0xbe11bafb, v16
	v_add_f32_e32 v53, v55, v53
	v_add_f32_e32 v55, v59, v41
	;; [unrolled: 1-line block ×3, first 2 shown]
	v_mul_f32_e32 v12, 0xbf68dda4, v12
	v_mul_f32_e32 v15, 0xbf7d64f0, v15
	;; [unrolled: 1-line block ×3, first 2 shown]
	v_add_f32_e32 v55, v55, v35
	v_add_f32_e32 v57, v58, v57
	v_fma_f32 v58, 0x3f575c64, v10, -v8
	v_fmac_f32_e32 v8, 0x3f575c64, v10
	v_mul_f32_e32 v61, 0x3f0a6770, v50
	v_add_f32_e32 v55, v55, v34
	v_add_f32_e32 v10, v56, v57
	v_fma_f32 v56, 0x3ed4b147, v11, -v12
	v_fmac_f32_e32 v12, 0x3ed4b147, v11
	v_add_f32_e32 v8, v9, v8
	v_add_f32_e32 v11, v55, v31
	;; [unrolled: 1-line block ×3, first 2 shown]
	v_fma_f32 v55, 0xbe11bafb, v13, -v15
	v_fmac_f32_e32 v15, 0xbe11bafb, v13
	v_add_f32_e32 v8, v12, v8
	v_add_f32_e32 v11, v11, v32
	;; [unrolled: 1-line block ×3, first 2 shown]
	v_fma_f32 v12, 0xbf27a4f4, v16, -v17
	v_mul_f32_e32 v13, 0xbe903f40, v50
	v_add_f32_e32 v8, v15, v8
	v_add_f32_e32 v11, v11, v25
	v_mul_u32_u24_e32 v15, 0x160, v21
	v_fmac_f32_e32 v17, 0xbf27a4f4, v16
	v_add_f32_e32 v9, v55, v9
	v_fma_f32 v16, 0xbf75a155, v20, -v13
	v_add_f32_e32 v11, v11, v36
	v_or_b32_e32 v15, v15, v33
	v_add_f32_e32 v8, v17, v8
	v_fmac_f32_e32 v13, 0xbf75a155, v20
	v_fma_f32 v59, 0x3f575c64, v20, -v61
	v_add_f32_e32 v11, v11, v43
	v_fmac_f32_e32 v61, 0x3f575c64, v20
	v_add_f32_e32 v9, v12, v9
	v_lshl_add_u32 v12, v15, 2, 0
	v_add_f32_e32 v8, v13, v8
	v_add_f32_e32 v11, v11, v48
	;; [unrolled: 1-line block ×4, first 2 shown]
	v_add_nc_u32_e32 v15, 0x400, v12
	v_add_f32_e32 v9, v16, v9
	ds_write2_b32 v12, v11, v8 offset1:32
	ds_write2_b32 v12, v10, v54 offset0:64 offset1:96
	ds_write2_b32 v12, v52, v14 offset0:128 offset1:160
	ds_write2_b32 v12, v19, v18 offset0:192 offset1:224
	ds_write2_b32 v15, v51, v13 offset1:32
	ds_write_b32 v12, v9 offset:1280
.LBB0_19:
	s_or_b32 exec_lo, exec_lo, s1
	v_add_nc_u32_e32 v8, 0xd00, v0
	v_add_nc_u32_e32 v10, 0x1300, v0
	;; [unrolled: 1-line block ×4, first 2 shown]
	s_waitcnt lgkmcnt(0)
	s_barrier
	buffer_gl0_inv
	v_add_nc_u32_e32 v20, v29, v47
	ds_read2_b32 v[8:9], v8 offset0:48 offset1:224
	ds_read2_b32 v[10:11], v10 offset0:16 offset1:192
	ds_read_b32 v14, v19
	ds_read_b32 v13, v16
	;; [unrolled: 1-line block ×3, first 2 shown]
	ds_read_b32 v18, v0 offset:2112
	ds_read_b32 v15, v20
	ds_read_b32 v17, v0 offset:6336
	s_waitcnt lgkmcnt(0)
	s_barrier
	buffer_gl0_inv
	s_and_saveexec_b32 s1, s0
	s_cbranch_execz .LBB0_21
; %bb.20:
	v_add_f32_e32 v28, v7, v45
	v_add_f32_e32 v29, v45, v39
	v_sub_f32_e32 v30, v44, v48
	v_add_f32_e32 v44, v42, v40
	v_sub_f32_e32 v41, v41, v43
	v_add_f32_e32 v28, v28, v42
	v_mul_f32_e32 v42, 0x3f575c64, v29
	v_mul_f32_e32 v43, 0x3ed4b147, v29
	;; [unrolled: 1-line block ×4, first 2 shown]
	v_add_f32_e32 v28, v28, v37
	v_mul_f32_e32 v29, 0xbf75a155, v29
	v_mul_f32_e32 v47, 0x3ed4b147, v44
	v_fmamk_f32 v50, v30, 0x3f0a6770, v42
	v_fmac_f32_e32 v42, 0xbf0a6770, v30
	v_add_f32_e32 v28, v28, v26
	v_mul_f32_e32 v48, 0xbf27a4f4, v44
	v_fmamk_f32 v51, v30, 0x3f68dda4, v43
	v_fmac_f32_e32 v43, 0xbf68dda4, v30
	v_fmamk_f32 v52, v30, 0x3f7d64f0, v45
	v_add_f32_e32 v28, v28, v23
	v_fmac_f32_e32 v45, 0xbf7d64f0, v30
	v_fmamk_f32 v53, v30, 0x3f4178ce, v46
	v_fmac_f32_e32 v46, 0xbf4178ce, v30
	v_fmamk_f32 v54, v30, 0x3e903f40, v29
	v_add_f32_e32 v28, v28, v24
	v_fmac_f32_e32 v29, 0xbe903f40, v30
	v_fmamk_f32 v30, v41, 0x3f68dda4, v47
	v_fmac_f32_e32 v47, 0xbf68dda4, v41
	v_add_f32_e32 v50, v7, v50
	v_add_f32_e32 v28, v28, v22
	;; [unrolled: 1-line block ×3, first 2 shown]
	v_mul_f32_e32 v49, 0xbf75a155, v44
	v_fmamk_f32 v55, v41, 0x3f4178ce, v48
	v_add_f32_e32 v51, v7, v51
	v_add_f32_e32 v28, v28, v38
	;; [unrolled: 1-line block ×11, first 2 shown]
	v_fmac_f32_e32 v48, 0xbf4178ce, v41
	v_add_f32_e32 v30, v47, v42
	v_mul_f32_e32 v47, 0xbe11bafb, v44
	v_mul_f32_e32 v44, 0x3f575c64, v44
	v_add_f32_e32 v37, v37, v38
	v_add_f32_e32 v43, v48, v43
	v_sub_f32_e32 v35, v35, v36
	v_fmamk_f32 v38, v41, 0xbf7d64f0, v47
	v_fmac_f32_e32 v47, 0x3f7d64f0, v41
	v_fmamk_f32 v48, v41, 0xbf0a6770, v44
	v_mul_f32_e32 v36, 0xbe11bafb, v37
	v_add_f32_e32 v28, v28, v39
	v_fmamk_f32 v39, v41, 0xbe903f40, v49
	v_fmac_f32_e32 v49, 0x3e903f40, v41
	v_fmac_f32_e32 v44, 0x3f0a6770, v41
	v_add_f32_e32 v40, v47, v40
	v_add_f32_e32 v41, v48, v46
	v_fmamk_f32 v46, v35, 0x3f7d64f0, v36
	v_mul_f32_e32 v47, 0xbf75a155, v37
	v_add_f32_e32 v42, v55, v51
	v_add_f32_e32 v7, v44, v7
	v_fmac_f32_e32 v36, 0xbf7d64f0, v35
	v_mul_f32_e32 v44, 0x3ed4b147, v37
	v_add_f32_e32 v29, v46, v29
	v_fmamk_f32 v46, v35, 0xbe903f40, v47
	v_add_f32_e32 v39, v39, v52
	v_add_f32_e32 v45, v49, v45
	;; [unrolled: 1-line block ×3, first 2 shown]
	v_fmamk_f32 v36, v35, 0xbf68dda4, v44
	v_fmac_f32_e32 v44, 0x3f68dda4, v35
	v_add_f32_e32 v42, v46, v42
	v_mul_f32_e32 v46, 0x3f575c64, v37
	v_add_f32_e32 v22, v26, v22
	v_mul_f32_e32 v26, 0xbf27a4f4, v37
	v_add_f32_e32 v38, v38, v53
	v_add_f32_e32 v36, v36, v39
	;; [unrolled: 1-line block ×3, first 2 shown]
	v_fmamk_f32 v37, v35, 0x3f0a6770, v46
	v_fmac_f32_e32 v46, 0xbf0a6770, v35
	v_sub_f32_e32 v25, v34, v25
	v_mul_f32_e32 v34, 0xbf27a4f4, v22
	v_fmamk_f32 v44, v35, 0x3f4178ce, v26
	v_fmac_f32_e32 v47, 0x3e903f40, v35
	v_add_f32_e32 v37, v37, v38
	v_add_f32_e32 v38, v46, v40
	v_fmac_f32_e32 v26, 0xbf4178ce, v35
	v_fmamk_f32 v35, v25, 0x3f4178ce, v34
	v_add_f32_e32 v40, v44, v41
	v_mul_f32_e32 v41, 0xbe11bafb, v22
	v_fmac_f32_e32 v34, 0xbf4178ce, v25
	v_add_f32_e32 v7, v26, v7
	v_add_f32_e32 v26, v35, v29
	v_mul_f32_e32 v29, 0x3f575c64, v22
	v_fmamk_f32 v35, v25, 0xbf7d64f0, v41
	v_add_f32_e32 v30, v34, v30
	v_mul_f32_e32 v34, 0xbf75a155, v22
	v_mul_f32_e32 v22, 0x3ed4b147, v22
	v_add_f32_e32 v23, v23, v24
	v_add_f32_e32 v35, v35, v42
	v_fmac_f32_e32 v41, 0x3f7d64f0, v25
	v_fmamk_f32 v42, v25, 0x3e903f40, v34
	v_fmac_f32_e32 v34, 0xbe903f40, v25
	v_fmamk_f32 v44, v25, 0x3f0a6770, v29
	;; [unrolled: 2-line block ×3, first 2 shown]
	v_fmac_f32_e32 v22, 0x3f68dda4, v25
	v_sub_f32_e32 v25, v31, v32
	v_mul_f32_e32 v31, 0xbf75a155, v23
	v_add_f32_e32 v32, v34, v38
	v_mul_f32_e32 v34, 0x3f575c64, v23
	v_add_f32_e32 v29, v29, v39
	v_add_f32_e32 v7, v22, v7
	v_fmamk_f32 v22, v25, 0x3e903f40, v31
	v_fmac_f32_e32 v31, 0xbe903f40, v25
	v_fmamk_f32 v38, v25, 0xbf0a6770, v34
	v_mul_f32_e32 v39, 0xbf27a4f4, v23
	v_mul_u32_u24_e32 v21, 0x160, v21
	v_add_f32_e32 v36, v44, v36
	v_add_f32_e32 v22, v22, v26
	;; [unrolled: 1-line block ×4, first 2 shown]
	v_fmamk_f32 v31, v25, 0x3f4178ce, v39
	v_mul_f32_e32 v35, 0x3ed4b147, v23
	v_mul_f32_e32 v23, 0xbe11bafb, v23
	v_add_f32_e32 v43, v47, v43
	v_or_b32_e32 v21, v21, v33
	v_add_f32_e32 v37, v42, v37
	v_add_f32_e32 v24, v24, v40
	;; [unrolled: 1-line block ×3, first 2 shown]
	v_fmamk_f32 v33, v25, 0xbf68dda4, v35
	v_fmamk_f32 v36, v25, 0x3f7d64f0, v23
	v_fmac_f32_e32 v35, 0x3f68dda4, v25
	v_fmac_f32_e32 v23, 0xbf7d64f0, v25
	v_add_f32_e32 v41, v41, v43
	v_fmac_f32_e32 v34, 0x3f0a6770, v25
	v_fmac_f32_e32 v39, 0xbf4178ce, v25
	v_lshl_add_u32 v21, v21, 2, 0
	v_add_f32_e32 v25, v33, v37
	v_add_f32_e32 v24, v36, v24
	;; [unrolled: 1-line block ×6, first 2 shown]
	v_add_nc_u32_e32 v23, 0x400, v21
	ds_write2_b32 v21, v28, v22 offset1:32
	ds_write2_b32 v21, v30, v31 offset0:64 offset1:96
	ds_write2_b32 v21, v25, v24 offset0:128 offset1:160
	;; [unrolled: 1-line block ×3, first 2 shown]
	ds_write2_b32 v23, v29, v34 offset1:32
	ds_write_b32 v21, v26 offset:1280
.LBB0_21:
	s_or_b32 exec_lo, exec_lo, s1
	s_waitcnt lgkmcnt(0)
	s_barrier
	buffer_gl0_inv
	s_and_saveexec_b32 s0, vcc_lo
	s_cbranch_execz .LBB0_23
; %bb.22:
	v_mov_b32_e32 v7, 0
	v_lshlrev_b64 v[1:2], 3, v[1:2]
	v_add_nc_u32_e32 v58, 0x1300, v0
	v_lshlrev_b64 v[21:22], 3, v[6:7]
	v_mov_b32_e32 v6, v7
	v_lshlrev_b64 v[5:6], 3, v[5:6]
	v_add_co_u32 v25, vcc_lo, s12, v21
	v_add_co_ci_u32_e32 v26, vcc_lo, s13, v22, vcc_lo
	v_add_co_u32 v21, vcc_lo, 0x800, v25
	v_add_co_ci_u32_e32 v22, vcc_lo, 0, v26, vcc_lo
	;; [unrolled: 2-line block ×3, first 2 shown]
	global_load_dwordx4 v[21:24], v[21:22], off offset:752
	v_add_co_u32 v7, vcc_lo, s12, v5
	global_load_dwordx4 v[28:31], v[25:26], off offset:16
	v_add_co_ci_u32_e32 v32, vcc_lo, s13, v6, vcc_lo
	v_add_co_u32 v5, vcc_lo, 0x800, v7
	v_add_co_ci_u32_e32 v6, vcc_lo, 0, v32, vcc_lo
	v_add_co_u32 v25, vcc_lo, 0xaf0, v7
	v_add_co_ci_u32_e32 v26, vcc_lo, 0, v32, vcc_lo
	s_clause 0x1
	global_load_dwordx4 v[32:35], v[5:6], off offset:752
	global_load_dwordx4 v[36:39], v[25:26], off offset:16
	v_mul_hi_u32 v7, 0xba2e8ba3, v27
	v_add_nc_u32_e32 v25, 0xb0, v27
	v_mul_lo_u32 v5, s5, v3
	v_mul_lo_u32 v6, s4, v4
	v_mad_u64_u32 v[3:4], null, s4, v3, 0
	v_mul_hi_u32 v26, 0xba2e8ba3, v25
	v_lshrrev_b32_e32 v7, 8, v7
	v_add3_u32 v4, v4, v6, v5
	v_mul_u32_u24_e32 v5, 0x160, v7
	v_lshrrev_b32_e32 v7, 8, v26
	v_lshlrev_b64 v[3:4], 3, v[3:4]
	v_sub_nc_u32_e32 v27, v27, v5
	v_mul_u32_u24_e32 v5, 0x160, v7
	v_add_co_u32 v6, vcc_lo, s10, v3
	v_add_nc_u32_e32 v47, 0x2c0, v27
	v_add_co_ci_u32_e32 v26, vcc_lo, s11, v4, vcc_lo
	v_add_nc_u32_e32 v48, 0x420, v27
	v_add_nc_u32_e32 v46, 0x160, v27
	;; [unrolled: 1-line block ×3, first 2 shown]
	v_sub_nc_u32_e32 v40, v25, v5
	v_add_co_u32 v56, vcc_lo, v6, v1
	v_mad_u64_u32 v[3:4], null, s2, v27, 0
	v_mad_u64_u32 v[5:6], null, s2, v47, 0
	v_add_co_ci_u32_e32 v57, vcc_lo, v26, v2, vcc_lo
	v_mad_u64_u32 v[25:26], null, s2, v48, 0
	v_mad_u64_u32 v[1:2], null, s2, v46, 0
	v_mad_u32_u24 v7, 0x6e0, v7, v40
	v_mad_u64_u32 v[40:41], null, s2, v49, 0
	v_mad_u64_u32 v[44:45], null, s3, v27, v[4:5]
	v_mov_b32_e32 v4, v6
	v_mov_b32_e32 v6, v26
	v_mad_u64_u32 v[26:27], null, s3, v46, v[2:3]
	v_mov_b32_e32 v2, v41
	v_mad_u64_u32 v[42:43], null, s2, v7, 0
	v_add_nc_u32_e32 v52, 0x160, v7
	v_add_nc_u32_e32 v53, 0x2c0, v7
	v_mad_u64_u32 v[45:46], null, s3, v47, v[4:5]
	v_mad_u64_u32 v[46:47], null, s3, v48, v[6:7]
	;; [unrolled: 1-line block ×5, first 2 shown]
	v_mov_b32_e32 v6, v43
	v_add_nc_u32_e32 v54, 0x420, v7
	v_mov_b32_e32 v4, v44
	v_add_nc_u32_e32 v55, 0x580, v7
	v_mov_b32_e32 v2, v26
	v_mad_u64_u32 v[43:44], null, s3, v7, v[6:7]
	v_mov_b32_e32 v7, v49
	v_mov_b32_e32 v27, v51
	;; [unrolled: 1-line block ×3, first 2 shown]
	v_mad_u64_u32 v[44:45], null, s2, v54, 0
	v_mov_b32_e32 v26, v46
	v_mov_b32_e32 v41, v47
	v_mad_u64_u32 v[46:47], null, s3, v52, v[7:8]
	v_add_nc_u32_e32 v47, 0xd00, v0
	v_lshlrev_b64 v[3:4], 3, v[3:4]
	v_mov_b32_e32 v7, v45
	v_lshlrev_b64 v[5:6], 3, v[5:6]
	v_lshlrev_b64 v[25:26], 3, v[25:26]
	;; [unrolled: 1-line block ×3, first 2 shown]
	v_mov_b32_e32 v49, v46
	v_mad_u64_u32 v[45:46], null, s3, v54, v[7:8]
	ds_read_b32 v7, v0 offset:6336
	ds_read_b32 v59, v20
	ds_read_b32 v60, v19
	v_add_co_u32 v3, vcc_lo, v56, v3
	v_add_co_ci_u32_e32 v4, vcc_lo, v57, v4, vcc_lo
	v_lshlrev_b64 v[42:43], 3, v[42:43]
	v_lshlrev_b64 v[44:45], 3, v[44:45]
	s_waitcnt vmcnt(2)
	v_mad_u64_u32 v[51:52], null, s3, v53, v[27:28]
	v_mad_u64_u32 v[52:53], null, s2, v55, 0
	v_mov_b32_e32 v27, v53
	v_mad_u64_u32 v[19:20], null, s3, v55, v[27:28]
	ds_read_b32 v27, v0 offset:2112
	ds_read_b32 v61, v0
	ds_read2_b32 v[46:47], v47 offset0:48 offset1:224
	ds_read2_b32 v[54:55], v58 offset0:16 offset1:192
	v_lshlrev_b64 v[0:1], 3, v[1:2]
	ds_read_b32 v16, v16
	v_mul_f32_e32 v2, v18, v22
	v_mov_b32_e32 v53, v19
	v_add_co_u32 v0, vcc_lo, v56, v0
	v_add_co_ci_u32_e32 v1, vcc_lo, v57, v1, vcc_lo
	v_add_co_u32 v5, vcc_lo, v56, v5
	v_add_co_ci_u32_e32 v6, vcc_lo, v57, v6, vcc_lo
	;; [unrolled: 2-line block ×4, first 2 shown]
	v_lshlrev_b64 v[40:41], 3, v[48:49]
	v_lshlrev_b64 v[48:49], 3, v[50:51]
	v_lshlrev_b64 v[50:51], 3, v[52:53]
	s_waitcnt lgkmcnt(4)
	v_mul_f32_e32 v22, v27, v22
	v_mul_f32_e32 v52, v8, v24
	s_waitcnt lgkmcnt(2)
	v_mul_f32_e32 v24, v46, v24
	v_add_co_u32 v42, vcc_lo, v56, v42
	v_add_co_ci_u32_e32 v43, vcc_lo, v57, v43, vcc_lo
	v_fma_f32 v2, v27, v21, -v2
	v_mul_f32_e32 v27, v10, v29
	v_fmac_f32_e32 v22, v18, v21
	v_mul_f32_e32 v18, v17, v31
	v_fma_f32 v21, v46, v23, -v52
	v_fmac_f32_e32 v24, v8, v23
	s_waitcnt lgkmcnt(1)
	v_mul_f32_e32 v23, v54, v29
	v_mul_f32_e32 v29, v7, v31
	v_add_co_u32 v40, vcc_lo, v56, v40
	v_add_co_ci_u32_e32 v41, vcc_lo, v57, v41, vcc_lo
	v_add_co_u32 v48, vcc_lo, v56, v48
	v_fma_f32 v27, v54, v28, -v27
	v_fma_f32 v31, v7, v30, -v18
	v_fmac_f32_e32 v23, v10, v28
	v_fmac_f32_e32 v29, v17, v30
	s_waitcnt vmcnt(1)
	v_mul_f32_e32 v7, v15, v33
	s_waitcnt vmcnt(0)
	v_mul_f32_e32 v10, v11, v39
	v_mul_f32_e32 v17, v9, v37
	;; [unrolled: 1-line block ×6, first 2 shown]
	v_add_co_ci_u32_e32 v49, vcc_lo, v57, v49, vcc_lo
	v_add_co_u32 v44, vcc_lo, v56, v44
	v_mul_f32_e32 v8, v14, v35
	v_add_co_ci_u32_e32 v45, vcc_lo, v57, v45, vcc_lo
	v_add_co_u32 v50, vcc_lo, v56, v50
	v_fma_f32 v35, v55, v38, -v10
	v_sub_f32_e32 v10, v21, v2
	v_sub_f32_e32 v37, v27, v31
	v_fma_f32 v39, v47, v36, -v17
	v_add_f32_e32 v17, v2, v31
	v_fmac_f32_e32 v33, v11, v38
	v_fmac_f32_e32 v30, v9, v36
	v_sub_f32_e32 v36, v2, v31
	v_sub_f32_e32 v53, v2, v21
	v_add_f32_e32 v56, v21, v27
	v_fmac_f32_e32 v18, v15, v32
	v_fmac_f32_e32 v28, v14, v34
	s_waitcnt lgkmcnt(0)
	v_add_f32_e32 v2, v2, v16
	v_add_co_ci_u32_e32 v51, vcc_lo, v57, v51, vcc_lo
	v_sub_f32_e32 v11, v24, v22
	v_sub_f32_e32 v9, v23, v29
	v_add_f32_e32 v47, v22, v29
	v_fma_f32 v55, v59, v32, -v7
	v_fma_f32 v57, v60, v34, -v8
	v_add_f32_e32 v14, v24, v23
	v_sub_f32_e32 v38, v22, v29
	v_sub_f32_e32 v58, v22, v24
	;; [unrolled: 1-line block ×3, first 2 shown]
	v_add_f32_e32 v22, v13, v22
	v_add_f32_e32 v32, v10, v37
	v_fma_f32 v8, -0.5, v17, v16
	v_fma_f32 v10, -0.5, v56, v16
	v_add_f32_e32 v2, v21, v2
	v_sub_f32_e32 v16, v18, v28
	v_sub_f32_e32 v17, v33, v30
	;; [unrolled: 1-line block ×3, first 2 shown]
	v_add_f32_e32 v34, v11, v9
	v_fma_f32 v7, -0.5, v47, v13
	v_fma_f32 v9, -0.5, v14, v13
	v_sub_f32_e32 v13, v55, v57
	v_sub_f32_e32 v14, v35, v39
	v_add_f32_e32 v21, v28, v30
	v_sub_f32_e32 v54, v31, v27
	v_add_f32_e32 v47, v58, v15
	v_add_f32_e32 v11, v24, v22
	;; [unrolled: 1-line block ×7, first 2 shown]
	v_sub_f32_e32 v56, v55, v35
	v_sub_f32_e32 v22, v57, v55
	v_add_f32_e32 v59, v13, v14
	v_fma_f32 v13, -0.5, v21, v12
	v_add_f32_e32 v21, v55, v61
	v_add_f32_e32 v55, v12, v18
	v_sub_f32_e32 v46, v24, v23
	v_add_f32_e32 v37, v53, v54
	v_sub_f32_e32 v53, v18, v33
	v_sub_f32_e32 v24, v39, v35
	v_add_f32_e32 v23, v11, v23
	v_fma_f32 v14, -0.5, v15, v61
	v_sub_f32_e32 v54, v28, v30
	v_sub_f32_e32 v58, v57, v39
	;; [unrolled: 1-line block ×3, first 2 shown]
	v_fma_f32 v18, -0.5, v27, v61
	v_fma_f32 v17, -0.5, v17, v12
	v_sub_f32_e32 v60, v30, v33
	v_add_f32_e32 v57, v57, v21
	v_add_f32_e32 v55, v55, v28
	v_add_f32_e32 v63, v22, v24
	v_add_f32_e32 v21, v23, v29
	v_fmamk_f32 v24, v53, 0xbf737871, v14
	v_fmamk_f32 v23, v56, 0x3f737871, v13
	v_fmac_f32_e32 v14, 0x3f737871, v53
	v_fmac_f32_e32 v13, 0xbf737871, v56
	v_fmamk_f32 v28, v54, 0x3f737871, v18
	v_fmamk_f32 v27, v58, 0xbf737871, v17
	v_fmac_f32_e32 v18, 0xbf737871, v54
	v_fmac_f32_e32 v17, 0x3f737871, v58
	v_add_f32_e32 v60, v11, v60
	v_fmamk_f32 v16, v46, 0x3f737871, v8
	v_fmamk_f32 v15, v52, 0xbf737871, v7
	;; [unrolled: 1-line block ×4, first 2 shown]
	v_fmac_f32_e32 v8, 0xbf737871, v46
	v_fmac_f32_e32 v10, 0xbf737871, v38
	;; [unrolled: 1-line block ×4, first 2 shown]
	v_add_f32_e32 v22, v31, v2
	v_add_f32_e32 v2, v39, v57
	;; [unrolled: 1-line block ×3, first 2 shown]
	v_fmac_f32_e32 v14, 0x3f167918, v54
	v_fmac_f32_e32 v13, 0xbf167918, v58
	;; [unrolled: 1-line block ×16, first 2 shown]
	v_add_f32_e32 v30, v35, v2
	v_add_f32_e32 v29, v33, v29
	v_fmac_f32_e32 v14, 0x3e9e377a, v59
	v_fmac_f32_e32 v13, 0x3e9e377a, v62
	;; [unrolled: 1-line block ×16, first 2 shown]
	global_store_dwordx2 v[3:4], v[29:30], off
	global_store_dwordx2 v[0:1], v[13:14], off
	;; [unrolled: 1-line block ×10, first 2 shown]
.LBB0_23:
	s_endpgm
	.section	.rodata,"a",@progbits
	.p2align	6, 0x0
	.amdhsa_kernel fft_rtc_back_len1760_factors_2_2_2_2_2_11_5_wgs_176_tpt_176_halfLds_sp_op_CI_CI_sbrr_dirReg
		.amdhsa_group_segment_fixed_size 0
		.amdhsa_private_segment_fixed_size 0
		.amdhsa_kernarg_size 104
		.amdhsa_user_sgpr_count 6
		.amdhsa_user_sgpr_private_segment_buffer 1
		.amdhsa_user_sgpr_dispatch_ptr 0
		.amdhsa_user_sgpr_queue_ptr 0
		.amdhsa_user_sgpr_kernarg_segment_ptr 1
		.amdhsa_user_sgpr_dispatch_id 0
		.amdhsa_user_sgpr_flat_scratch_init 0
		.amdhsa_user_sgpr_private_segment_size 0
		.amdhsa_wavefront_size32 1
		.amdhsa_uses_dynamic_stack 0
		.amdhsa_system_sgpr_private_segment_wavefront_offset 0
		.amdhsa_system_sgpr_workgroup_id_x 1
		.amdhsa_system_sgpr_workgroup_id_y 0
		.amdhsa_system_sgpr_workgroup_id_z 0
		.amdhsa_system_sgpr_workgroup_info 0
		.amdhsa_system_vgpr_workitem_id 0
		.amdhsa_next_free_vgpr 66
		.amdhsa_next_free_sgpr 31
		.amdhsa_reserve_vcc 1
		.amdhsa_reserve_flat_scratch 0
		.amdhsa_float_round_mode_32 0
		.amdhsa_float_round_mode_16_64 0
		.amdhsa_float_denorm_mode_32 3
		.amdhsa_float_denorm_mode_16_64 3
		.amdhsa_dx10_clamp 1
		.amdhsa_ieee_mode 1
		.amdhsa_fp16_overflow 0
		.amdhsa_workgroup_processor_mode 1
		.amdhsa_memory_ordered 1
		.amdhsa_forward_progress 0
		.amdhsa_shared_vgpr_count 0
		.amdhsa_exception_fp_ieee_invalid_op 0
		.amdhsa_exception_fp_denorm_src 0
		.amdhsa_exception_fp_ieee_div_zero 0
		.amdhsa_exception_fp_ieee_overflow 0
		.amdhsa_exception_fp_ieee_underflow 0
		.amdhsa_exception_fp_ieee_inexact 0
		.amdhsa_exception_int_div_zero 0
	.end_amdhsa_kernel
	.text
.Lfunc_end0:
	.size	fft_rtc_back_len1760_factors_2_2_2_2_2_11_5_wgs_176_tpt_176_halfLds_sp_op_CI_CI_sbrr_dirReg, .Lfunc_end0-fft_rtc_back_len1760_factors_2_2_2_2_2_11_5_wgs_176_tpt_176_halfLds_sp_op_CI_CI_sbrr_dirReg
                                        ; -- End function
	.section	.AMDGPU.csdata,"",@progbits
; Kernel info:
; codeLenInByte = 9332
; NumSgprs: 33
; NumVgprs: 66
; ScratchSize: 0
; MemoryBound: 0
; FloatMode: 240
; IeeeMode: 1
; LDSByteSize: 0 bytes/workgroup (compile time only)
; SGPRBlocks: 4
; VGPRBlocks: 8
; NumSGPRsForWavesPerEU: 33
; NumVGPRsForWavesPerEU: 66
; Occupancy: 12
; WaveLimiterHint : 1
; COMPUTE_PGM_RSRC2:SCRATCH_EN: 0
; COMPUTE_PGM_RSRC2:USER_SGPR: 6
; COMPUTE_PGM_RSRC2:TRAP_HANDLER: 0
; COMPUTE_PGM_RSRC2:TGID_X_EN: 1
; COMPUTE_PGM_RSRC2:TGID_Y_EN: 0
; COMPUTE_PGM_RSRC2:TGID_Z_EN: 0
; COMPUTE_PGM_RSRC2:TIDIG_COMP_CNT: 0
	.text
	.p2alignl 6, 3214868480
	.fill 48, 4, 3214868480
	.type	__hip_cuid_20293948a35b1d90,@object ; @__hip_cuid_20293948a35b1d90
	.section	.bss,"aw",@nobits
	.globl	__hip_cuid_20293948a35b1d90
__hip_cuid_20293948a35b1d90:
	.byte	0                               ; 0x0
	.size	__hip_cuid_20293948a35b1d90, 1

	.ident	"AMD clang version 19.0.0git (https://github.com/RadeonOpenCompute/llvm-project roc-6.4.0 25133 c7fe45cf4b819c5991fe208aaa96edf142730f1d)"
	.section	".note.GNU-stack","",@progbits
	.addrsig
	.addrsig_sym __hip_cuid_20293948a35b1d90
	.amdgpu_metadata
---
amdhsa.kernels:
  - .args:
      - .actual_access:  read_only
        .address_space:  global
        .offset:         0
        .size:           8
        .value_kind:     global_buffer
      - .offset:         8
        .size:           8
        .value_kind:     by_value
      - .actual_access:  read_only
        .address_space:  global
        .offset:         16
        .size:           8
        .value_kind:     global_buffer
      - .actual_access:  read_only
        .address_space:  global
        .offset:         24
        .size:           8
        .value_kind:     global_buffer
      - .actual_access:  read_only
        .address_space:  global
        .offset:         32
        .size:           8
        .value_kind:     global_buffer
      - .offset:         40
        .size:           8
        .value_kind:     by_value
      - .actual_access:  read_only
        .address_space:  global
        .offset:         48
        .size:           8
        .value_kind:     global_buffer
      - .actual_access:  read_only
        .address_space:  global
        .offset:         56
        .size:           8
        .value_kind:     global_buffer
      - .offset:         64
        .size:           4
        .value_kind:     by_value
      - .actual_access:  read_only
        .address_space:  global
        .offset:         72
        .size:           8
        .value_kind:     global_buffer
      - .actual_access:  read_only
        .address_space:  global
        .offset:         80
        .size:           8
        .value_kind:     global_buffer
      - .actual_access:  read_only
        .address_space:  global
        .offset:         88
        .size:           8
        .value_kind:     global_buffer
      - .actual_access:  write_only
        .address_space:  global
        .offset:         96
        .size:           8
        .value_kind:     global_buffer
    .group_segment_fixed_size: 0
    .kernarg_segment_align: 8
    .kernarg_segment_size: 104
    .language:       OpenCL C
    .language_version:
      - 2
      - 0
    .max_flat_workgroup_size: 176
    .name:           fft_rtc_back_len1760_factors_2_2_2_2_2_11_5_wgs_176_tpt_176_halfLds_sp_op_CI_CI_sbrr_dirReg
    .private_segment_fixed_size: 0
    .sgpr_count:     33
    .sgpr_spill_count: 0
    .symbol:         fft_rtc_back_len1760_factors_2_2_2_2_2_11_5_wgs_176_tpt_176_halfLds_sp_op_CI_CI_sbrr_dirReg.kd
    .uniform_work_group_size: 1
    .uses_dynamic_stack: false
    .vgpr_count:     66
    .vgpr_spill_count: 0
    .wavefront_size: 32
    .workgroup_processor_mode: 1
amdhsa.target:   amdgcn-amd-amdhsa--gfx1030
amdhsa.version:
  - 1
  - 2
...

	.end_amdgpu_metadata
